;; amdgpu-corpus repo=ROCm/rocFFT kind=compiled arch=gfx950 opt=O3
	.text
	.amdgcn_target "amdgcn-amd-amdhsa--gfx950"
	.amdhsa_code_object_version 6
	.protected	fft_rtc_back_len1980_factors_11_2_3_3_5_2_wgs_198_tpt_198_halfLds_sp_ip_CI_unitstride_sbrr_dirReg ; -- Begin function fft_rtc_back_len1980_factors_11_2_3_3_5_2_wgs_198_tpt_198_halfLds_sp_ip_CI_unitstride_sbrr_dirReg
	.globl	fft_rtc_back_len1980_factors_11_2_3_3_5_2_wgs_198_tpt_198_halfLds_sp_ip_CI_unitstride_sbrr_dirReg
	.p2align	8
	.type	fft_rtc_back_len1980_factors_11_2_3_3_5_2_wgs_198_tpt_198_halfLds_sp_ip_CI_unitstride_sbrr_dirReg,@function
fft_rtc_back_len1980_factors_11_2_3_3_5_2_wgs_198_tpt_198_halfLds_sp_ip_CI_unitstride_sbrr_dirReg: ; @fft_rtc_back_len1980_factors_11_2_3_3_5_2_wgs_198_tpt_198_halfLds_sp_ip_CI_unitstride_sbrr_dirReg
; %bb.0:
	s_load_dwordx2 s[8:9], s[0:1], 0x50
	s_load_dwordx4 s[4:7], s[0:1], 0x0
	s_load_dwordx2 s[10:11], s[0:1], 0x18
	v_mul_u32_u24_e32 v1, 0x14b, v0
	v_add_u32_sdwa v6, s2, v1 dst_sel:DWORD dst_unused:UNUSED_PAD src0_sel:DWORD src1_sel:WORD_1
	v_mov_b32_e32 v4, 0
	s_waitcnt lgkmcnt(0)
	v_cmp_lt_u64_e64 s[2:3], s[6:7], 2
	v_mov_b32_e32 v7, v4
	s_and_b64 vcc, exec, s[2:3]
	v_mov_b64_e32 v[2:3], 0
	s_cbranch_vccnz .LBB0_8
; %bb.1:
	s_load_dwordx2 s[2:3], s[0:1], 0x10
	s_add_u32 s12, s10, 8
	s_addc_u32 s13, s11, 0
	s_mov_b64 s[14:15], 1
	v_mov_b64_e32 v[2:3], 0
	s_waitcnt lgkmcnt(0)
	s_add_u32 s16, s2, 8
	s_addc_u32 s17, s3, 0
.LBB0_2:                                ; =>This Inner Loop Header: Depth=1
	s_load_dwordx2 s[18:19], s[16:17], 0x0
                                        ; implicit-def: $vgpr8_vgpr9
	s_waitcnt lgkmcnt(0)
	v_or_b32_e32 v5, s19, v7
	v_cmp_ne_u64_e32 vcc, 0, v[4:5]
	s_and_saveexec_b64 s[2:3], vcc
	s_xor_b64 s[20:21], exec, s[2:3]
	s_cbranch_execz .LBB0_4
; %bb.3:                                ;   in Loop: Header=BB0_2 Depth=1
	v_cvt_f32_u32_e32 v1, s18
	v_cvt_f32_u32_e32 v5, s19
	s_sub_u32 s2, 0, s18
	s_subb_u32 s3, 0, s19
	v_fmac_f32_e32 v1, 0x4f800000, v5
	v_rcp_f32_e32 v1, v1
	s_nop 0
	v_mul_f32_e32 v1, 0x5f7ffffc, v1
	v_mul_f32_e32 v5, 0x2f800000, v1
	v_trunc_f32_e32 v5, v5
	v_fmac_f32_e32 v1, 0xcf800000, v5
	v_cvt_u32_f32_e32 v5, v5
	v_cvt_u32_f32_e32 v1, v1
	v_mul_lo_u32 v8, s2, v5
	v_mul_hi_u32 v10, s2, v1
	v_mul_lo_u32 v9, s3, v1
	v_add_u32_e32 v10, v10, v8
	v_mul_lo_u32 v12, s2, v1
	v_add_u32_e32 v13, v10, v9
	v_mul_hi_u32 v8, v1, v12
	v_mul_hi_u32 v11, v1, v13
	v_mul_lo_u32 v10, v1, v13
	v_mov_b32_e32 v9, v4
	v_lshl_add_u64 v[8:9], v[8:9], 0, v[10:11]
	v_mul_hi_u32 v11, v5, v12
	v_mul_lo_u32 v12, v5, v12
	v_add_co_u32_e32 v8, vcc, v8, v12
	v_mul_hi_u32 v10, v5, v13
	s_nop 0
	v_addc_co_u32_e32 v8, vcc, v9, v11, vcc
	v_mov_b32_e32 v9, v4
	s_nop 0
	v_addc_co_u32_e32 v11, vcc, 0, v10, vcc
	v_mul_lo_u32 v10, v5, v13
	v_lshl_add_u64 v[8:9], v[8:9], 0, v[10:11]
	v_add_co_u32_e32 v1, vcc, v1, v8
	v_mul_lo_u32 v10, s2, v1
	s_nop 0
	v_addc_co_u32_e32 v5, vcc, v5, v9, vcc
	v_mul_lo_u32 v8, s2, v5
	v_mul_hi_u32 v9, s2, v1
	v_add_u32_e32 v8, v9, v8
	v_mul_lo_u32 v9, s3, v1
	v_add_u32_e32 v12, v8, v9
	v_mul_hi_u32 v14, v5, v10
	v_mul_lo_u32 v15, v5, v10
	v_mul_hi_u32 v9, v1, v12
	v_mul_lo_u32 v8, v1, v12
	v_mul_hi_u32 v10, v1, v10
	v_mov_b32_e32 v11, v4
	v_lshl_add_u64 v[8:9], v[10:11], 0, v[8:9]
	v_add_co_u32_e32 v8, vcc, v8, v15
	v_mul_hi_u32 v13, v5, v12
	s_nop 0
	v_addc_co_u32_e32 v8, vcc, v9, v14, vcc
	v_mul_lo_u32 v10, v5, v12
	s_nop 0
	v_addc_co_u32_e32 v11, vcc, 0, v13, vcc
	v_mov_b32_e32 v9, v4
	v_lshl_add_u64 v[8:9], v[8:9], 0, v[10:11]
	v_add_co_u32_e32 v1, vcc, v1, v8
	v_mul_hi_u32 v10, v6, v1
	s_nop 0
	v_addc_co_u32_e32 v5, vcc, v5, v9, vcc
	v_mad_u64_u32 v[8:9], s[2:3], v6, v5, 0
	v_mov_b32_e32 v11, v4
	v_lshl_add_u64 v[8:9], v[10:11], 0, v[8:9]
	v_mad_u64_u32 v[12:13], s[2:3], v7, v1, 0
	v_add_co_u32_e32 v1, vcc, v8, v12
	v_mad_u64_u32 v[10:11], s[2:3], v7, v5, 0
	s_nop 0
	v_addc_co_u32_e32 v8, vcc, v9, v13, vcc
	v_mov_b32_e32 v9, v4
	s_nop 0
	v_addc_co_u32_e32 v11, vcc, 0, v11, vcc
	v_lshl_add_u64 v[8:9], v[8:9], 0, v[10:11]
	v_mul_lo_u32 v1, s19, v8
	v_mul_lo_u32 v5, s18, v9
	v_mad_u64_u32 v[10:11], s[2:3], s18, v8, 0
	v_add3_u32 v1, v11, v5, v1
	v_sub_u32_e32 v5, v7, v1
	v_mov_b32_e32 v11, s19
	v_sub_co_u32_e32 v14, vcc, v6, v10
	v_lshl_add_u64 v[12:13], v[8:9], 0, 1
	s_nop 0
	v_subb_co_u32_e64 v5, s[2:3], v5, v11, vcc
	v_subrev_co_u32_e64 v10, s[2:3], s18, v14
	v_subb_co_u32_e32 v1, vcc, v7, v1, vcc
	s_nop 0
	v_subbrev_co_u32_e64 v5, s[2:3], 0, v5, s[2:3]
	v_cmp_le_u32_e64 s[2:3], s19, v5
	v_cmp_le_u32_e32 vcc, s19, v1
	s_nop 0
	v_cndmask_b32_e64 v11, 0, -1, s[2:3]
	v_cmp_le_u32_e64 s[2:3], s18, v10
	s_nop 1
	v_cndmask_b32_e64 v10, 0, -1, s[2:3]
	v_cmp_eq_u32_e64 s[2:3], s19, v5
	s_nop 1
	v_cndmask_b32_e64 v5, v11, v10, s[2:3]
	v_lshl_add_u64 v[10:11], v[8:9], 0, 2
	v_cmp_ne_u32_e64 s[2:3], 0, v5
	s_nop 1
	v_cndmask_b32_e64 v5, v13, v11, s[2:3]
	v_cndmask_b32_e64 v11, 0, -1, vcc
	v_cmp_le_u32_e32 vcc, s18, v14
	s_nop 1
	v_cndmask_b32_e64 v13, 0, -1, vcc
	v_cmp_eq_u32_e32 vcc, s19, v1
	s_nop 1
	v_cndmask_b32_e32 v1, v11, v13, vcc
	v_cmp_ne_u32_e32 vcc, 0, v1
	v_cndmask_b32_e64 v1, v12, v10, s[2:3]
	s_nop 0
	v_cndmask_b32_e32 v9, v9, v5, vcc
	v_cndmask_b32_e32 v8, v8, v1, vcc
.LBB0_4:                                ;   in Loop: Header=BB0_2 Depth=1
	s_andn2_saveexec_b64 s[2:3], s[20:21]
	s_cbranch_execz .LBB0_6
; %bb.5:                                ;   in Loop: Header=BB0_2 Depth=1
	v_cvt_f32_u32_e32 v1, s18
	s_sub_i32 s20, 0, s18
	v_rcp_iflag_f32_e32 v1, v1
	s_nop 0
	v_mul_f32_e32 v1, 0x4f7ffffe, v1
	v_cvt_u32_f32_e32 v1, v1
	v_mul_lo_u32 v5, s20, v1
	v_mul_hi_u32 v5, v1, v5
	v_add_u32_e32 v1, v1, v5
	v_mul_hi_u32 v1, v6, v1
	v_mul_lo_u32 v5, v1, s18
	v_sub_u32_e32 v5, v6, v5
	v_add_u32_e32 v8, 1, v1
	v_subrev_u32_e32 v9, s18, v5
	v_cmp_le_u32_e32 vcc, s18, v5
	s_nop 1
	v_cndmask_b32_e32 v5, v5, v9, vcc
	v_cndmask_b32_e32 v1, v1, v8, vcc
	v_add_u32_e32 v8, 1, v1
	v_cmp_le_u32_e32 vcc, s18, v5
	v_mov_b32_e32 v9, v4
	s_nop 0
	v_cndmask_b32_e32 v8, v1, v8, vcc
.LBB0_6:                                ;   in Loop: Header=BB0_2 Depth=1
	s_or_b64 exec, exec, s[2:3]
	v_mad_u64_u32 v[10:11], s[2:3], v8, s18, 0
	s_load_dwordx2 s[2:3], s[12:13], 0x0
	v_mul_lo_u32 v1, v9, s18
	v_mul_lo_u32 v5, v8, s19
	v_add3_u32 v1, v11, v5, v1
	v_sub_co_u32_e32 v5, vcc, v6, v10
	s_add_u32 s14, s14, 1
	s_nop 0
	v_subb_co_u32_e32 v1, vcc, v7, v1, vcc
	s_addc_u32 s15, s15, 0
	s_waitcnt lgkmcnt(0)
	v_mul_lo_u32 v1, s2, v1
	v_mul_lo_u32 v6, s3, v5
	v_mad_u64_u32 v[2:3], s[2:3], s2, v5, v[2:3]
	s_add_u32 s12, s12, 8
	v_add3_u32 v3, v6, v3, v1
	s_addc_u32 s13, s13, 0
	v_mov_b64_e32 v[6:7], s[6:7]
	s_add_u32 s16, s16, 8
	v_cmp_ge_u64_e32 vcc, s[14:15], v[6:7]
	s_addc_u32 s17, s17, 0
	s_cbranch_vccnz .LBB0_9
; %bb.7:                                ;   in Loop: Header=BB0_2 Depth=1
	v_mov_b64_e32 v[6:7], v[8:9]
	s_branch .LBB0_2
.LBB0_8:
	v_mov_b64_e32 v[8:9], v[6:7]
.LBB0_9:
	s_lshl_b64 s[2:3], s[6:7], 3
	s_add_u32 s2, s10, s2
	s_addc_u32 s3, s11, s3
	s_load_dwordx2 s[6:7], s[2:3], 0x0
	s_load_dwordx2 s[10:11], s[0:1], 0x20
	s_mov_b32 s2, 0x14afd6b
	v_mov_b32_e32 v7, 0
	v_mov_b32_e32 v23, 0
	s_waitcnt lgkmcnt(0)
	v_mul_lo_u32 v1, s6, v9
	v_mul_lo_u32 v6, s7, v8
	v_mad_u64_u32 v[4:5], s[0:1], s6, v8, v[2:3]
	v_add3_u32 v5, v6, v5, v1
	v_mul_hi_u32 v1, v0, s2
	v_mul_u32_u24_e32 v1, 0xc6, v1
	v_sub_u32_e32 v2, v0, v1
	s_movk_i32 s2, 0xb4
	v_cmp_gt_u64_e64 s[0:1], s[10:11], v[8:9]
	v_cmp_gt_u32_e64 s[2:3], s2, v2
	s_and_b64 s[10:11], s[0:1], s[2:3]
	v_lshl_add_u64 v[0:1], v[4:5], 3, s[8:9]
                                        ; implicit-def: $vgpr26
                                        ; implicit-def: $vgpr32
                                        ; implicit-def: $vgpr34
                                        ; implicit-def: $vgpr20
                                        ; implicit-def: $vgpr30
                                        ; implicit-def: $vgpr28
                                        ; implicit-def: $vgpr10
                                        ; implicit-def: $vgpr4
                                        ; implicit-def: $vgpr8
                                        ; implicit-def: $vgpr12
	s_and_saveexec_b64 s[6:7], s[10:11]
	s_cbranch_execz .LBB0_11
; %bb.10:
	v_mov_b32_e32 v3, 0
	v_lshl_add_u64 v[4:5], v[2:3], 3, v[0:1]
	v_add_co_u32_e32 v6, vcc, 0x1000, v4
	s_nop 1
	v_addc_co_u32_e32 v7, vcc, 0, v5, vcc
	v_add_co_u32_e32 v16, vcc, 0x2000, v4
	global_load_dwordx2 v[14:15], v[4:5], off
	global_load_dwordx2 v[20:21], v[4:5], off offset:1440
	global_load_dwordx2 v[30:31], v[4:5], off offset:2880
	;; [unrolled: 1-line block ×3, first 2 shown]
	v_addc_co_u32_e32 v17, vcc, 0, v5, vcc
	global_load_dwordx2 v[28:29], v[6:7], off offset:1664
	global_load_dwordx2 v[10:11], v[6:7], off offset:3104
	;; [unrolled: 1-line block ×3, first 2 shown]
	v_add_co_u32_e32 v6, vcc, 0x3000, v4
	s_waitcnt vmcnt(3)
	v_mov_b32_e32 v34, v27
	v_addc_co_u32_e32 v7, vcc, 0, v5, vcc
	global_load_dwordx2 v[32:33], v[6:7], off offset:2112
	global_load_dwordx2 v[4:5], v[16:17], off offset:3328
	;; [unrolled: 1-line block ×4, first 2 shown]
	v_mov_b32_e32 v7, v15
	s_waitcnt vmcnt(4)
	v_mov_b32_e32 v6, v23
	v_mov_b32_e32 v23, v14
	s_waitcnt vmcnt(3)
	v_mov_b32_e32 v35, v33
.LBB0_11:
	s_or_b64 exec, exec, s[6:7]
	v_pk_add_f32 v[48:49], v[20:21], v[34:35] neg_lo:[0,1] neg_hi:[0,1]
	v_add_f32_e32 v36, v20, v32
	s_mov_b32 s15, 0x3f575c64
	v_mul_f32_e32 v47, 0xbf0a6770, v49
	s_waitcnt vmcnt(1)
	v_pk_add_f32 v[18:19], v[30:31], v[8:9] neg_lo:[0,1] neg_hi:[0,1]
	v_fma_f32 v3, v36, s15, -v47
	v_pk_add_f32 v[14:15], v[30:31], v[8:9]
	s_mov_b32 s12, 0x3ed4b147
	v_mul_f32_e32 v27, 0xbf68dda4, v19
	v_add_f32_e32 v3, v23, v3
	s_mov_b32 s13, 0xbf68dda4
	v_fma_f32 v16, v14, s12, -v27
	v_add_f32_e32 v3, v3, v16
	v_mov_b32_e32 v16, v5
	v_pk_add_f32 v[42:43], v[34:35], v[16:17] op_sel_hi:[1,0] neg_lo:[0,1] neg_hi:[0,1]
	v_add_f32_e32 v38, v26, v4
	s_mov_b32 s8, 0xbe11bafb
	v_mul_f32_e32 v37, 0xbf7d64f0, v42
	s_mov_b32 s9, 0xbf7d64f0
	v_fma_f32 v16, v38, s8, -v37
	s_waitcnt vmcnt(0)
	v_pk_add_f32 v[24:25], v[28:29], v[12:13] neg_lo:[0,1] neg_hi:[0,1]
	v_add_f32_e32 v3, v16, v3
	v_pk_add_f32 v[16:17], v[28:29], v[12:13]
	s_mov_b32 s10, 0xbf27a4f4
	v_mul_f32_e32 v39, 0xbf4178ce, v25
	v_mov_b32_e32 v44, v11
	s_mov_b32 s11, 0xbf4178ce
	v_fma_f32 v33, v16, s10, -v39
	v_pk_add_f32 v[44:45], v[44:45], v[6:7] op_sel_hi:[0,1] neg_lo:[0,1] neg_hi:[0,1]
	v_add_f32_e32 v3, v3, v33
	v_pk_add_f32 v[40:41], v[10:11], v[22:23]
	s_mov_b32 s6, 0xbf75a155
	v_mul_f32_e32 v33, 0xbe903f40, v44
	s_mov_b32 s7, 0xbe903f40
	v_fma_f32 v46, v40, s6, -v33
	s_mov_b32 s18, 0xbf0a6770
	v_add_f32_e32 v3, v46, v3
	s_and_saveexec_b64 s[16:17], s[2:3]
	s_cbranch_execz .LBB0_13
; %bb.12:
	v_mul_f32_e32 v46, 0xbf75a155, v40
	v_add_f32_e32 v33, v33, v46
	v_add_f32_e32 v46, v23, v20
	;; [unrolled: 1-line block ×4, first 2 shown]
	v_mul_f32_e32 v51, 0x3f575c64, v36
	v_add_f32_e32 v46, v46, v28
	v_mov_b32_e32 v50, v10
	v_mul_f32_e32 v58, 0x3ed4b147, v14
	v_pk_add_f32 v[46:47], v[46:47], v[50:51]
	v_mul_f32_e32 v60, 0xbe11bafb, v38
	v_add_f32_e32 v59, v27, v58
	v_pk_add_f32 v[46:47], v[46:47], v[22:23]
	v_mov_b32_e32 v58, v12
	v_mul_f32_e32 v62, 0xbf27a4f4, v16
	v_pk_add_f32 v[46:47], v[46:47], v[58:59]
	v_add_f32_e32 v61, v37, v60
	v_mov_b32_e32 v60, v4
	v_pk_add_f32 v[46:47], v[60:61], v[46:47]
	v_add_f32_e32 v63, v39, v62
	v_mov_b32_e32 v62, v8
	s_mov_b32 s22, s11
	s_mov_b32 s23, s7
	;; [unrolled: 1-line block ×4, first 2 shown]
	v_pk_add_f32 v[46:47], v[62:63], v[46:47]
	v_pk_mul_f32 v[52:53], v[48:49], s[22:23] op_sel:[1,0]
	s_mov_b32 s31, 0x3f68dda4
	s_mov_b32 s30, s7
	;; [unrolled: 1-line block ×4, first 2 shown]
	v_pk_mul_f32 v[48:49], v[48:49], s[34:35] op_sel:[1,0]
	s_mov_b32 s35, 0x3e903f40
	s_mov_b32 s34, s11
	v_mad_u32_u24 v12, v2, 44, 0
	v_pk_add_f32 v[46:47], v[32:33], v[46:47]
	s_mov_b32 s20, s10
	s_mov_b32 s21, s6
	;; [unrolled: 1-line block ×3, first 2 shown]
	v_pk_mul_f32 v[54:55], v[24:25], s[30:31] op_sel:[1,0]
	v_pk_mul_f32 v[56:57], v[18:19], s[34:35] op_sel:[1,0]
	s_mov_b32 s30, s35
	ds_write2_b32 v12, v46, v47 offset1:1
	v_pk_fma_f32 v[46:47], v[36:37], s[26:27], v[48:49] op_sel_hi:[0,1,1]
	s_mov_b32 s29, 0x3f0a6770
	s_mov_b32 s24, s6
	;; [unrolled: 1-line block ×3, first 2 shown]
	v_pk_mul_f32 v[50:51], v[42:43], s[30:31] op_sel_hi:[0,1]
	s_mov_b32 s34, s28
	s_mov_b32 s35, s18
	v_pk_add_f32 v[46:47], v[22:23], v[46:47] op_sel:[1,0]
	v_pk_fma_f32 v[62:63], v[14:15], s[20:21], v[56:57] op_sel_hi:[0,1,1]
	s_mov_b32 s14, s8
	v_pk_mul_f32 v[58:59], v[24:25], s[34:35] op_sel:[1,0]
	s_mov_b32 s34, s29
	s_mov_b32 s35, s11
	v_pk_add_f32 v[46:47], v[46:47], v[62:63]
	v_pk_fma_f32 v[62:63], v[38:39], s[24:25], v[50:51] op_sel_hi:[0,1,1]
	s_mov_b32 s22, s15
	s_mov_b32 s23, s10
	v_pk_mul_f32 v[60:61], v[44:45], s[34:35] op_sel_hi:[0,1]
	v_pk_add_f32 v[46:47], v[62:63], v[46:47]
	v_pk_fma_f32 v[62:63], v[16:17], s[14:15], v[58:59] op_sel_hi:[0,1,1]
	v_pk_add_f32 v[46:47], v[46:47], v[62:63]
	v_pk_fma_f32 v[62:63], v[40:41], s[22:23], v[60:61] op_sel_hi:[0,1,1]
	v_pk_add_f32 v[46:47], v[62:63], v[46:47]
	v_pk_mul_f32 v[62:63], v[18:19], s[28:29] op_sel:[1,0]
	ds_write2_b32 v12, v46, v47 offset0:2 offset1:3
	v_pk_fma_f32 v[46:47], v[36:37], s[20:21], v[52:53] op_sel_hi:[0,1,1]
	s_mov_b32 s19, s11
	v_pk_add_f32 v[46:47], v[22:23], v[46:47] op_sel:[1,0]
	v_pk_fma_f32 v[64:65], v[14:15], s[14:15], v[62:63] op_sel_hi:[0,1,1]
	v_pk_mul_f32 v[42:43], v[42:43], s[18:19] op_sel_hi:[0,1]
	v_pk_add_f32 v[46:47], v[46:47], v[64:65]
	v_pk_fma_f32 v[64:65], v[38:39], s[22:23], v[42:43] op_sel_hi:[0,1,1]
	s_mov_b32 s18, s31
	s_mov_b32 s19, s9
	v_pk_add_f32 v[46:47], v[64:65], v[46:47]
	v_pk_fma_f32 v[64:65], v[16:17], s[24:25], v[54:55] op_sel_hi:[0,1,1]
	v_pk_mul_f32 v[44:45], v[44:45], s[18:19] op_sel_hi:[0,1]
	v_pk_add_f32 v[46:47], v[46:47], v[64:65]
	v_pk_fma_f32 v[64:65], v[40:41], s[26:27], v[44:45] op_sel_hi:[0,1,1]
	v_pk_add_f32 v[46:47], v[64:65], v[46:47]
	ds_write2_b32 v12, v46, v47 offset0:4 offset1:5
	v_pk_fma_f32 v[46:47], v[36:37], s[20:21], v[52:53] op_sel_hi:[0,1,1] neg_lo:[0,0,1] neg_hi:[0,0,1]
	v_pk_add_f32 v[46:47], v[22:23], v[46:47] op_sel:[1,0]
	v_pk_fma_f32 v[52:53], v[14:15], s[14:15], v[62:63] op_sel_hi:[0,1,1] neg_lo:[0,0,1] neg_hi:[0,0,1]
	v_pk_add_f32 v[46:47], v[46:47], v[52:53]
	v_pk_fma_f32 v[42:43], v[38:39], s[22:23], v[42:43] op_sel_hi:[0,1,1] neg_lo:[0,0,1] neg_hi:[0,0,1]
	v_pk_add_f32 v[42:43], v[42:43], v[46:47]
	;; [unrolled: 2-line block ×4, first 2 shown]
	v_pk_fma_f32 v[36:37], v[36:37], s[26:27], v[48:49] op_sel_hi:[0,1,1] neg_lo:[0,0,1] neg_hi:[0,0,1]
	v_mov_b32_e32 v27, v42
	ds_write2_b32 v12, v43, v42 offset0:6 offset1:7
	v_pk_add_f32 v[36:37], v[22:23], v[36:37] op_sel:[1,0]
	v_pk_fma_f32 v[42:43], v[14:15], s[20:21], v[56:57] op_sel_hi:[0,1,1] neg_lo:[0,0,1] neg_hi:[0,0,1]
	v_pk_add_f32 v[36:37], v[36:37], v[42:43]
	v_pk_fma_f32 v[38:39], v[38:39], s[24:25], v[50:51] op_sel_hi:[0,1,1] neg_lo:[0,0,1] neg_hi:[0,0,1]
	v_pk_add_f32 v[36:37], v[38:39], v[36:37]
	;; [unrolled: 2-line block ×4, first 2 shown]
	ds_write2_b32 v12, v37, v36 offset0:8 offset1:9
	ds_write_b32 v12, v3 offset:40
	v_mov_b32_e32 v8, v37
	v_mov_b32_e32 v23, v36
.LBB0_13:
	s_or_b64 exec, exec, s[16:17]
	v_pk_add_f32 v[36:37], v[6:7], v[20:21]
	v_sub_f32_e32 v12, v20, v32
	v_pk_add_f32 v[38:39], v[36:37], v[30:31]
	v_mov_b32_e32 v30, v15
	v_mov_b32_e32 v20, v39
	v_mov_b32_e32 v31, v18
	v_mov_b32_e32 v27, v34
	v_pk_add_f32 v[32:33], v[20:21], v[34:35]
	v_mov_b32_e32 v53, 0x3f575c64
	v_mov_b32_e32 v52, v29
	v_pk_mul_f32 v[42:43], v[30:31], s[12:13]
	v_pk_add_f32 v[30:31], v[26:27], v[4:5]
	v_pk_add_f32 v[36:37], v[26:27], v[4:5] neg_lo:[0,1] neg_hi:[0,1]
	v_pk_mul_f32 v[48:49], v[32:33], v[52:53]
	v_mov_b32_e32 v26, v31
	v_mov_b32_e32 v27, v36
	v_fmamk_f32 v20, v12, 0xbf0a6770, v49
	v_add_f32_e32 v8, v42, v43
	v_pk_mul_f32 v[44:45], v[26:27], s[8:9]
	v_mov_b32_e32 v26, v17
	v_mov_b32_e32 v27, v24
	v_add_f32_e32 v20, v7, v20
	v_add_f32_e32 v4, v44, v45
	v_pk_mul_f32 v[46:47], v[26:27], s[10:11]
	v_add_f32_e32 v8, v20, v8
	v_add_f32_e32 v4, v4, v8
	v_add_f32_e32 v8, v46, v47
	v_mov_b32_e32 v23, v6
	v_mov_b32_e32 v40, v35
	v_add_f32_e32 v41, v4, v8
	v_pk_add_f32 v[34:35], v[10:11], v[22:23]
	v_pk_add_f32 v[38:39], v[10:11], v[22:23] neg_lo:[0,1] neg_hi:[0,1]
	v_lshl_add_u32 v54, v2, 2, 0
	v_add_u32_e32 v8, 0x18c, v2
	v_mov_b32_e32 v20, v35
	v_mov_b32_e32 v21, v38
	v_add_u32_e32 v60, 0xc00, v54
	v_add_u32_e32 v61, 0x1200, v54
	;; [unrolled: 1-line block ×3, first 2 shown]
	v_lshl_add_u32 v55, v8, 2, 0
	v_add_u32_e32 v62, 0x1800, v54
	v_pk_mul_f32 v[50:51], v[20:21], s[6:7]
	s_waitcnt lgkmcnt(0)
	s_barrier
	ds_read2_b32 v[28:29], v54 offset1:198
	ds_read2_b32 v[22:23], v60 offset0:24 offset1:222
	ds_read2_b32 v[20:21], v61 offset0:36 offset1:234
	v_lshl_add_u32 v56, v4, 2, 0
	ds_read_b32 v58, v55
	ds_read_b32 v59, v56
	ds_read2_b32 v[26:27], v62 offset0:48 offset1:246
	v_add_f32_e32 v10, v50, v51
	v_add_f32_e32 v57, v10, v41
	s_waitcnt lgkmcnt(0)
	s_barrier
	s_and_saveexec_b64 s[6:7], s[2:3]
	s_cbranch_execz .LBB0_15
; %bb.14:
	v_mov_b32_e32 v10, v11
	v_mul_f32_e32 v65, 0xbf0a6770, v12
	v_pk_add_f32 v[52:53], v[32:33], v[52:53]
	v_mov_b32_e32 v64, v11
	v_mov_b32_e32 v41, v42
	v_pk_add_f32 v[10:11], v[52:53], v[10:11]
	v_pk_add_f32 v[48:49], v[48:49], v[64:65] neg_lo:[0,1] neg_hi:[0,1]
	v_pk_add_f32 v[42:43], v[40:41], v[42:43] neg_lo:[0,1] neg_hi:[0,1]
	v_mov_b32_e32 v41, v44
	v_mov_b32_e32 v11, v49
	v_pk_add_f32 v[44:45], v[40:41], v[44:45] neg_lo:[0,1] neg_hi:[0,1]
	v_mov_b32_e32 v41, v46
	v_pk_add_f32 v[10:11], v[10:11], v[6:7]
	v_mov_b32_e32 v42, v13
	v_pk_add_f32 v[46:47], v[40:41], v[46:47] neg_lo:[0,1] neg_hi:[0,1]
	v_pk_add_f32 v[10:11], v[10:11], v[42:43]
	v_mov_b32_e32 v44, v5
	v_mov_b32_e32 v5, v50
	v_pk_add_f32 v[10:11], v[44:45], v[10:11]
	v_mov_b32_e32 v46, v9
	v_pk_add_f32 v[42:43], v[4:5], v[50:51] neg_lo:[0,1] neg_hi:[0,1]
	v_pk_add_f32 v[10:11], v[46:47], v[10:11]
	v_mov_b32_e32 v41, v43
	s_mov_b32 s3, 0xbf7d64f0
	s_mov_b32 s2, 0xbf68dda4
	;; [unrolled: 1-line block ×3, first 2 shown]
	v_pk_add_f32 v[10:11], v[40:41], v[10:11]
	v_pk_mul_f32 v[40:41], v[12:13], s[2:3] op_sel_hi:[0,1]
	s_mov_b32 s8, 0xbf27a4f4
	s_mov_b32 s11, 0x3e903f40
	;; [unrolled: 1-line block ×6, first 2 shown]
	v_pk_mul_f32 v[42:43], v[18:19], s[10:11] op_sel_hi:[0,1]
	s_mov_b32 s15, 0x3f68dda4
	s_mov_b32 s14, s11
	v_pk_fma_f32 v[50:51], v[32:33], s[16:17], v[40:41] op_sel:[1,0,0] neg_lo:[0,0,1] neg_hi:[0,0,1]
	v_pk_fma_f32 v[44:45], v[14:15], s[8:9], v[42:43] op_sel:[1,0,0] neg_lo:[0,0,1] neg_hi:[0,0,1]
	s_mov_b32 s12, s9
	v_pk_mul_f32 v[46:47], v[36:37], s[14:15] op_sel_hi:[0,1]
	v_pk_add_f32 v[50:51], v[6:7], v[50:51] op_sel:[1,0]
	s_mov_b32 s20, 0x3f7d64f0
	v_pk_fma_f32 v[48:49], v[30:31], s[12:13], v[46:47] op_sel:[1,0,0] neg_lo:[0,0,1] neg_hi:[0,0,1]
	v_pk_add_f32 v[44:45], v[50:51], v[44:45]
	s_mov_b32 s21, 0xbf0a6770
	v_pk_fma_f32 v[40:41], v[32:33], s[16:17], v[40:41] op_sel:[1,0,0]
	v_pk_add_f32 v[44:45], v[48:49], v[44:45]
	s_mov_b32 s19, 0x3f575c64
	s_mov_b32 s18, s17
	v_pk_mul_f32 v[48:49], v[24:25], s[20:21] op_sel_hi:[0,1]
	v_pk_fma_f32 v[42:43], v[14:15], s[8:9], v[42:43] op_sel:[1,0,0]
	v_pk_add_f32 v[40:41], v[6:7], v[40:41] op_sel:[1,0]
	v_pk_fma_f32 v[50:51], v[16:17], s[18:19], v[48:49] op_sel:[1,0,0] neg_lo:[0,0,1] neg_hi:[0,0,1]
	s_mov_b32 s24, 0x3f0a6770
	s_mov_b32 s25, s10
	v_pk_fma_f32 v[46:47], v[30:31], s[12:13], v[46:47] op_sel:[1,0,0]
	v_pk_add_f32 v[40:41], v[40:41], v[42:43]
	s_mov_b32 s11, 0xbe903f40
	v_pk_add_f32 v[44:45], v[44:45], v[50:51]
	s_mov_b32 s22, s19
	s_mov_b32 s23, s8
	v_pk_mul_f32 v[50:51], v[38:39], s[24:25] op_sel_hi:[0,1]
	v_pk_add_f32 v[40:41], v[46:47], v[40:41]
	v_pk_fma_f32 v[42:43], v[16:17], s[18:19], v[48:49] op_sel:[1,0,0]
	v_pk_mul_f32 v[12:13], v[12:13], s[10:11] op_sel_hi:[0,1]
	s_mov_b32 s26, s20
	s_mov_b32 s27, s24
	v_pk_add_f32 v[40:41], v[40:41], v[42:43]
	v_pk_fma_f32 v[42:43], v[34:35], s[22:23], v[50:51] op_sel:[1,0,0]
	v_pk_mul_f32 v[18:19], v[18:19], s[26:27] op_sel_hi:[0,1]
	s_mov_b32 s20, s21
	s_mov_b32 s21, s10
	v_pk_fma_f32 v[48:49], v[32:33], s[8:9], v[12:13] op_sel:[1,0,0] neg_lo:[0,0,1] neg_hi:[0,0,1]
	v_pk_fma_f32 v[12:13], v[32:33], s[8:9], v[12:13] op_sel:[1,0,0]
	v_pk_add_f32 v[40:41], v[42:43], v[40:41]
	v_pk_fma_f32 v[42:43], v[14:15], s[18:19], v[18:19] op_sel:[1,0,0] neg_lo:[0,0,1] neg_hi:[0,0,1]
	v_pk_mul_f32 v[36:37], v[36:37], s[20:21] op_sel_hi:[0,1]
	v_pk_add_f32 v[48:49], v[6:7], v[48:49] op_sel:[1,0]
	s_mov_b32 s14, s11
	v_pk_fma_f32 v[14:15], v[14:15], s[18:19], v[18:19] op_sel:[1,0,0]
	v_pk_add_f32 v[6:7], v[6:7], v[12:13] op_sel:[1,0]
	v_pk_fma_f32 v[46:47], v[30:31], s[22:23], v[36:37] op_sel:[1,0,0] neg_lo:[0,0,1] neg_hi:[0,0,1]
	v_pk_add_f32 v[42:43], v[48:49], v[42:43]
	v_pk_mul_f32 v[24:25], v[24:25], s[14:15] op_sel_hi:[0,1]
	s_mov_b32 s2, s15
	v_pk_fma_f32 v[18:19], v[30:31], s[22:23], v[36:37] op_sel:[1,0,0]
	v_pk_add_f32 v[6:7], v[6:7], v[14:15]
	v_pk_add_f32 v[42:43], v[46:47], v[42:43]
	v_pk_fma_f32 v[46:47], v[16:17], s[12:13], v[24:25] op_sel:[1,0,0] neg_lo:[0,0,1] neg_hi:[0,0,1]
	v_pk_mul_f32 v[38:39], v[38:39], s[2:3] op_sel_hi:[0,1]
	v_pk_add_f32 v[6:7], v[18:19], v[6:7]
	v_pk_fma_f32 v[12:13], v[16:17], s[12:13], v[24:25] op_sel:[1,0,0]
	v_pk_fma_f32 v[52:53], v[34:35], s[22:23], v[50:51] op_sel:[1,0,0] neg_lo:[0,0,1] neg_hi:[0,0,1]
	v_pk_add_f32 v[42:43], v[42:43], v[46:47]
	v_pk_fma_f32 v[46:47], v[34:35], s[16:17], v[38:39] op_sel:[1,0,0] neg_lo:[0,0,1] neg_hi:[0,0,1]
	v_pk_add_f32 v[6:7], v[6:7], v[12:13]
	v_pk_fma_f32 v[12:13], v[34:35], s[16:17], v[38:39] op_sel:[1,0,0]
	v_mad_u32_u24 v9, v2, 40, v54
	v_pk_add_f32 v[44:45], v[52:53], v[44:45]
	v_pk_add_f32 v[42:43], v[46:47], v[42:43]
	;; [unrolled: 1-line block ×3, first 2 shown]
	ds_write2_b32 v9, v10, v11 offset1:1
	ds_write2_b32 v9, v44, v45 offset0:2 offset1:3
	ds_write2_b32 v9, v42, v43 offset0:4 offset1:5
	;; [unrolled: 1-line block ×3, first 2 shown]
	v_mov_b32_e32 v5, v40
	ds_write2_b32 v9, v41, v40 offset0:8 offset1:9
	ds_write_b32 v9, v57 offset:40
.LBB0_15:
	s_or_b64 exec, exec, s[6:7]
	s_movk_i32 s2, 0x75
	v_add_u32_e32 v5, 0xc6, v2
	v_mul_lo_u16_sdwa v7, v2, s2 dst_sel:DWORD dst_unused:UNUSED_PAD src0_sel:BYTE_0 src1_sel:DWORD
	s_mov_b32 s2, 0xba2f
	v_mul_u32_u24_sdwa v11, v5, s2 dst_sel:DWORD dst_unused:UNUSED_PAD src0_sel:WORD_0 src1_sel:DWORD
	v_lshrrev_b32_e32 v11, 19, v11
	v_mul_lo_u16_e32 v12, 11, v11
	v_sub_u16_e32 v16, v5, v12
	v_mul_u32_u24_sdwa v12, v8, s2 dst_sel:DWORD dst_unused:UNUSED_PAD src0_sel:WORD_0 src1_sel:DWORD
	v_lshrrev_b32_e32 v17, 19, v12
	v_sub_u16_sdwa v9, v2, v7 dst_sel:DWORD dst_unused:UNUSED_PAD src0_sel:DWORD src1_sel:BYTE_1
	v_mul_lo_u16_e32 v12, 11, v17
	v_add_u32_e32 v6, 0x318, v2
	v_lshrrev_b16_e32 v9, 1, v9
	v_sub_u16_e32 v18, v8, v12
	v_mul_u32_u24_sdwa v12, v4, s2 dst_sel:DWORD dst_unused:UNUSED_PAD src0_sel:WORD_0 src1_sel:DWORD
	v_and_b32_e32 v9, 0x7f, v9
	v_lshrrev_b32_e32 v19, 19, v12
	v_mul_u32_u24_sdwa v12, v6, s2 dst_sel:DWORD dst_unused:UNUSED_PAD src0_sel:WORD_0 src1_sel:DWORD
	v_add_u16_sdwa v7, v9, v7 dst_sel:DWORD dst_unused:UNUSED_PAD src0_sel:DWORD src1_sel:BYTE_1
	v_lshrrev_b32_e32 v24, 19, v12
	v_lshrrev_b16_e32 v9, 3, v7
	v_mul_lo_u16_e32 v12, 11, v24
	v_mul_lo_u16_e32 v7, 11, v9
	v_sub_u16_e32 v25, v6, v12
	v_sub_u16_e32 v10, v2, v7
	v_mov_b32_e32 v7, 3
	v_lshlrev_b32_e32 v12, 3, v25
	v_mul_lo_u16_e32 v30, 11, v19
	s_waitcnt lgkmcnt(0)
	s_barrier
	v_lshlrev_b32_sdwa v7, v7, v10 dst_sel:DWORD dst_unused:UNUSED_PAD src0_sel:DWORD src1_sel:BYTE_0
	global_load_dwordx2 v[12:13], v12, s[4:5]
	v_sub_u16_e32 v45, v4, v30
	v_lshlrev_b32_e32 v14, 3, v16
	v_lshlrev_b32_e32 v15, 3, v18
	;; [unrolled: 1-line block ×3, first 2 shown]
	global_load_dwordx2 v[38:39], v7, s[4:5]
	global_load_dwordx2 v[36:37], v14, s[4:5]
	;; [unrolled: 1-line block ×4, first 2 shown]
	ds_read2_b32 v[30:31], v54 offset1:198
	ds_read2_b32 v[14:15], v60 offset0:24 offset1:222
	ds_read2_b32 v[42:43], v61 offset0:36 offset1:234
	ds_read_b32 v44, v55
	ds_read_b32 v7, v56
	ds_read2_b32 v[40:41], v62 offset0:48 offset1:246
	s_mov_b32 s3, 0x5040100
	s_movk_i32 s2, 0x58
	v_mov_b32_e32 v49, 2
	v_perm_b32 v17, v19, v17, s3
	v_mul_u32_u24_e32 v11, 0x58, v11
	v_pk_mul_lo_u16 v17, v17, s2 op_sel_hi:[1,0]
	v_lshlrev_b32_e32 v16, 2, v16
	v_mul_u32_u24_e32 v9, 0x58, v9
	v_lshlrev_b32_sdwa v10, v49, v10 dst_sel:DWORD dst_unused:UNUSED_PAD src0_sel:DWORD src1_sel:BYTE_0
	v_mul_u32_u24_e32 v19, 0x58, v24
	v_and_b32_e32 v24, 0xfff8, v17
	v_lshlrev_b32_e32 v18, 2, v18
	v_lshrrev_b32_e32 v17, 16, v17
	v_lshlrev_b32_e32 v47, 2, v45
	v_add3_u32 v45, 0, v11, v16
	v_add3_u32 v49, 0, v9, v10
	;; [unrolled: 1-line block ×4, first 2 shown]
	v_lshlrev_b32_e32 v25, 2, v25
	v_add3_u32 v48, 0, v19, v25
	s_waitcnt lgkmcnt(0)
	s_barrier
	v_add_u32_e32 v50, 0x1400, v54
	s_movk_i32 s2, 0x41
	s_movk_i32 s6, 0x42
	v_cmp_lt_u32_e64 s[2:3], s2, v2
	v_cmp_gt_u32_e32 vcc, s6, v2
	s_waitcnt vmcnt(4)
	v_mul_f32_e32 v9, v41, v13
	v_fmac_f32_e32 v9, v27, v12
	s_waitcnt vmcnt(3)
	v_mul_f32_e32 v10, v15, v39
	s_waitcnt vmcnt(2)
	v_mul_f32_e32 v11, v42, v37
	;; [unrolled: 2-line block ×4, first 2 shown]
	v_fmac_f32_e32 v10, v23, v38
	v_fmac_f32_e32 v11, v20, v36
	v_sub_f32_e32 v16, v22, v9
	v_fmac_f32_e32 v17, v21, v34
	v_fmac_f32_e32 v18, v26, v32
	v_sub_f32_e32 v10, v28, v10
	v_sub_f32_e32 v11, v29, v11
	v_fma_f32 v9, v22, 2.0, -v16
	v_sub_f32_e32 v17, v58, v17
	v_sub_f32_e32 v18, v59, v18
	v_fma_f32 v19, v28, 2.0, -v10
	v_fma_f32 v22, v29, 2.0, -v11
	;; [unrolled: 1-line block ×4, first 2 shown]
	ds_write2_b32 v49, v19, v10 offset1:11
	ds_write2_b32 v45, v22, v11 offset1:11
	;; [unrolled: 1-line block ×5, first 2 shown]
	v_add_u32_e32 v22, 0xa00, v54
	s_waitcnt lgkmcnt(0)
	s_barrier
	ds_read2_b32 v[18:19], v54 offset1:198
	ds_read2_b32 v[10:11], v22 offset0:20 offset1:218
	ds_read2_b32 v[24:25], v50 offset0:40 offset1:238
	ds_read_b32 v28, v54 offset:4224
	ds_read_b32 v9, v55
	ds_read_b32 v17, v54 offset:6864
                                        ; implicit-def: $vgpr29
	s_and_saveexec_b64 s[6:7], vcc
	s_cbranch_execz .LBB0_17
; %bb.16:
	ds_read_b32 v3, v54 offset:5016
	ds_read_b32 v16, v56
	ds_read_b32 v29, v54 offset:7656
.LBB0_17:
	s_or_b64 exec, exec, s[6:7]
	v_mul_f32_e32 v23, v23, v39
	v_fma_f32 v15, v15, v38, -v23
	v_mul_f32_e32 v20, v20, v37
	v_mul_f32_e32 v23, v26, v33
	v_fma_f32 v20, v42, v36, -v20
	v_mul_f32_e32 v21, v21, v35
	v_fma_f32 v23, v40, v32, -v23
	;; [unrolled: 2-line block ×3, first 2 shown]
	v_fma_f32 v12, v41, v12, -v13
	v_sub_f32_e32 v15, v30, v15
	v_sub_f32_e32 v20, v31, v20
	;; [unrolled: 1-line block ×3, first 2 shown]
	v_fma_f32 v26, v30, 2.0, -v15
	v_fma_f32 v27, v31, 2.0, -v20
	v_sub_f32_e32 v21, v44, v21
	v_fma_f32 v7, v7, 2.0, -v23
	v_sub_f32_e32 v13, v14, v12
	v_fma_f32 v30, v44, 2.0, -v21
	v_fma_f32 v12, v14, 2.0, -v13
	s_waitcnt lgkmcnt(0)
	s_barrier
	ds_write2_b32 v49, v26, v15 offset1:11
	ds_write2_b32 v45, v27, v20 offset1:11
	;; [unrolled: 1-line block ×5, first 2 shown]
	s_waitcnt lgkmcnt(0)
	s_barrier
	ds_read2_b32 v[14:15], v54 offset1:198
	ds_read2_b32 v[22:23], v22 offset0:20 offset1:218
	ds_read2_b32 v[20:21], v50 offset0:40 offset1:238
	ds_read_b32 v32, v54 offset:4224
	ds_read_b32 v7, v55
	ds_read_b32 v27, v54 offset:6864
                                        ; implicit-def: $vgpr38
	s_and_saveexec_b64 s[6:7], vcc
	s_cbranch_execz .LBB0_19
; %bb.18:
	ds_read_b32 v57, v54 offset:5016
	ds_read_b32 v13, v56
	ds_read_b32 v38, v54 offset:7656
.LBB0_19:
	s_or_b64 exec, exec, s[6:7]
	v_lshrrev_b16_e32 v12, 1, v2
	v_and_b32_e32 v12, 0x7f, v12
	v_mul_lo_u16_e32 v12, 0xbb, v12
	v_lshrrev_b16_e32 v66, 11, v12
	v_mul_lo_u16_e32 v12, 22, v66
	s_mov_b32 s6, 0xba2f
	v_sub_u16_e32 v67, v2, v12
	v_mul_u32_u24_sdwa v12, v8, s6 dst_sel:DWORD dst_unused:UNUSED_PAD src0_sel:WORD_0 src1_sel:DWORD
	v_lshrrev_b32_e32 v68, 20, v12
	v_mul_lo_u16_e32 v12, 22, v68
	v_sub_u16_e32 v69, v8, v12
	v_mul_u32_u24_sdwa v26, v4, s6 dst_sel:DWORD dst_unused:UNUSED_PAD src0_sel:WORD_0 src1_sel:DWORD
	v_lshlrev_b32_e32 v12, 4, v69
	v_lshrrev_b32_e32 v30, 20, v26
	global_load_dwordx4 v[40:43], v12, s[4:5] offset:88
	v_mul_lo_u16_e32 v12, 22, v30
	v_sub_u16_e32 v31, v4, v12
	v_lshlrev_b32_e32 v12, 4, v31
	global_load_dwordx4 v[44:47], v12, s[4:5] offset:88
	v_mov_b32_e32 v12, 4
	v_mul_u32_u24_sdwa v26, v5, s6 dst_sel:DWORD dst_unused:UNUSED_PAD src0_sel:WORD_0 src1_sel:DWORD
	v_lshlrev_b32_sdwa v12, v12, v67 dst_sel:DWORD dst_unused:UNUSED_PAD src0_sel:DWORD src1_sel:BYTE_0
	v_lshrrev_b32_e32 v70, 20, v26
	global_load_dwordx4 v[48:51], v12, s[4:5] offset:88
	v_mul_lo_u16_e32 v12, 22, v70
	v_sub_u16_e32 v71, v5, v12
	v_lshlrev_b32_e32 v12, 4, v71
	global_load_dwordx4 v[58:61], v12, s[4:5] offset:88
	v_mov_b32_e32 v52, 0x3f5db3d7
	v_mov_b32_e32 v53, v16
	s_waitcnt lgkmcnt(0)
	s_barrier
	s_waitcnt vmcnt(3)
	v_mul_f32_e32 v12, v32, v41
	v_mul_f32_e32 v26, v27, v43
	;; [unrolled: 1-line block ×4, first 2 shown]
	s_waitcnt vmcnt(2)
	v_mul_f32_e32 v62, v57, v45
	v_mul_f32_e32 v64, v38, v47
	;; [unrolled: 1-line block ×5, first 2 shown]
	s_waitcnt vmcnt(1)
	v_mul_f32_e32 v36, v22, v49
	v_mul_f32_e32 v37, v20, v51
	v_fmac_f32_e32 v12, v28, v40
	v_fmac_f32_e32 v26, v17, v42
	s_waitcnt vmcnt(0)
	v_mul_f32_e32 v33, v23, v59
	v_mul_f32_e32 v35, v21, v61
	v_fmac_f32_e32 v62, v3, v44
	v_fmac_f32_e32 v64, v29, v46
	v_mul_f32_e32 v43, v10, v49
	v_mul_f32_e32 v45, v24, v51
	v_fma_f32 v28, v32, v40, -v34
	v_mul_f32_e32 v32, v25, v61
	v_fma_f32 v34, v27, v42, -v39
	v_fma_f32 v27, v38, v46, -v41
	v_fmac_f32_e32 v36, v10, v48
	v_fmac_f32_e32 v37, v24, v50
	;; [unrolled: 1-line block ×4, first 2 shown]
	v_add_f32_e32 v10, v12, v26
	v_pk_add_f32 v[24:25], v[62:63], v[64:65] neg_lo:[0,1] neg_hi:[0,1]
	v_mul_f32_e32 v47, v11, v59
	v_fma_f32 v40, v20, v50, -v45
	v_fma_f32 v38, v21, v60, -v32
	v_add_f32_e32 v3, v9, v12
	v_sub_f32_e32 v20, v28, v34
	v_add_f32_e32 v21, v62, v64
	v_mov_b32_e32 v11, v62
	v_add_f32_e32 v42, v33, v35
	v_fmac_f32_e32 v9, -0.5, v10
	v_sub_f32_e32 v10, v25, v27
	v_add_f32_e32 v41, v19, v33
	v_fmac_f32_e32 v16, -0.5, v21
	v_fmac_f32_e32 v19, -0.5, v42
	v_fmamk_f32 v42, v20, 0xbf5db3d7, v9
	v_fmac_f32_e32 v9, 0x3f5db3d7, v20
	v_pk_mul_f32 v[20:21], v[52:53], v[10:11]
	v_pk_add_f32 v[10:11], v[52:53], v[10:11]
	v_mov_b32_e32 v17, v64
	v_mov_b32_e32 v21, v11
	v_fma_f32 v39, v22, v48, -v43
	v_fma_f32 v29, v23, v58, -v47
	v_add_f32_e32 v23, v36, v37
	v_pk_add_f32 v[10:11], v[20:21], v[16:17]
	v_mov_b32_e32 v21, 2
	v_add_f32_e32 v22, v18, v36
	v_sub_f32_e32 v32, v39, v40
	v_fma_f32 v18, -0.5, v23, v18
	v_mul_u32_u24_e32 v17, 0x108, v66
	v_lshlrev_b32_sdwa v21, v21, v67 dst_sel:DWORD dst_unused:UNUSED_PAD src0_sel:DWORD src1_sel:BYTE_0
	v_add_f32_e32 v22, v22, v37
	v_add_f32_e32 v23, v41, v35
	v_fmamk_f32 v44, v32, 0xbf5db3d7, v18
	v_fmac_f32_e32 v18, 0x3f5db3d7, v32
	v_add3_u32 v41, 0, v17, v21
	v_sub_f32_e32 v43, v29, v38
	ds_write2_b32 v41, v22, v44 offset1:22
	ds_write_b32 v41, v18 offset:176
	v_mul_u32_u24_e32 v17, 0x108, v70
	v_lshlrev_b32_e32 v18, 2, v71
	v_fmamk_f32 v32, v43, 0xbf5db3d7, v19
	v_fmac_f32_e32 v19, 0x3f5db3d7, v43
	v_add3_u32 v43, 0, v17, v18
	v_mul_u32_u24_e32 v17, 0x108, v68
	v_lshlrev_b32_e32 v18, 2, v69
	v_add_f32_e32 v3, v3, v26
	v_add3_u32 v44, 0, v17, v18
	ds_write2_b32 v43, v23, v32 offset1:22
	ds_write_b32 v43, v19 offset:176
	ds_write2_b32 v44, v3, v42 offset1:22
	ds_write_b32 v44, v9 offset:176
	s_and_saveexec_b64 s[6:7], s[2:3]
	s_xor_b64 s[6:7], exec, s[6:7]
	s_or_saveexec_b64 s[6:7], s[6:7]
	v_sub_f32_e32 v3, v16, v20
	v_lshlrev_b32_e32 v42, 2, v31
	s_xor_b64 exec, exec, s[6:7]
	s_cbranch_execz .LBB0_21
; %bb.20:
	s_mov_b32 s8, 0xba2f
	v_mul_u32_u24_sdwa v9, v4, s8 dst_sel:DWORD dst_unused:UNUSED_PAD src0_sel:WORD_0 src1_sel:DWORD
	v_lshrrev_b32_e32 v9, 20, v9
	v_mul_lo_u16_e32 v9, 0x42, v9
	v_lshlrev_b32_e32 v9, 2, v9
	v_add3_u32 v9, 0, v42, v9
	ds_write2_b32 v9, v11, v3 offset1:22
	ds_write_b32 v9, v10 offset:176
.LBB0_21:
	s_or_b64 exec, exec, s[6:7]
	v_add_u32_e32 v9, 0xa00, v54
	s_waitcnt lgkmcnt(0)
	s_barrier
	ds_read2_b32 v[20:21], v9 offset0:20 offset1:218
	v_add_u32_e32 v9, 0x1400, v54
	ds_read2_b32 v[18:19], v54 offset1:198
	ds_read2_b32 v[22:23], v9 offset0:40 offset1:238
	ds_read_b32 v31, v54 offset:4224
	ds_read_b32 v9, v55
	ds_read_b32 v32, v54 offset:6864
	s_and_saveexec_b64 s[6:7], vcc
	s_cbranch_execz .LBB0_23
; %bb.22:
	ds_read_b32 v3, v54 offset:5016
	ds_read_b32 v11, v56
	ds_read_b32 v10, v54 offset:7656
.LBB0_23:
	s_or_b64 exec, exec, s[6:7]
	v_add_f32_e32 v16, v14, v39
	v_add_f32_e32 v45, v16, v40
	;; [unrolled: 1-line block ×3, first 2 shown]
	v_fma_f32 v14, -0.5, v16, v14
	v_sub_f32_e32 v16, v36, v37
	v_fmamk_f32 v36, v16, 0x3f5db3d7, v14
	v_fmac_f32_e32 v14, 0xbf5db3d7, v16
	v_add_f32_e32 v16, v15, v29
	v_add_f32_e32 v37, v16, v38
	;; [unrolled: 1-line block ×3, first 2 shown]
	v_fmac_f32_e32 v15, -0.5, v16
	v_sub_f32_e32 v16, v33, v35
	v_fmamk_f32 v33, v16, 0x3f5db3d7, v15
	v_fmac_f32_e32 v15, 0xbf5db3d7, v16
	v_add_f32_e32 v16, v7, v28
	v_add_f32_e32 v35, v16, v34
	;; [unrolled: 1-line block ×3, first 2 shown]
	v_fmac_f32_e32 v7, -0.5, v16
	v_sub_f32_e32 v12, v12, v26
	v_fmamk_f32 v34, v12, 0x3f5db3d7, v7
	v_fmac_f32_e32 v7, 0xbf5db3d7, v12
	v_mov_b32_e32 v12, 0x3f5db3d7
	v_pk_mul_f32 v[28:29], v[12:13], v[24:25]
	v_pk_add_f32 v[16:17], v[12:13], v[24:25]
	v_add_f32_e32 v12, v25, v27
	v_fmac_f32_e32 v13, -0.5, v12
	v_mov_b32_e32 v29, v17
	v_mov_b32_e32 v26, v13
	v_pk_add_f32 v[16:17], v[28:29], v[26:27]
	s_waitcnt lgkmcnt(0)
	s_barrier
	ds_write2_b32 v41, v45, v36 offset1:22
	ds_write_b32 v41, v14 offset:176
	ds_write2_b32 v43, v37, v33 offset1:22
	ds_write_b32 v43, v15 offset:176
	;; [unrolled: 2-line block ×3, first 2 shown]
	s_and_saveexec_b64 s[6:7], s[2:3]
	s_xor_b64 s[2:3], exec, s[6:7]
; %bb.24:
                                        ; implicit-def: $vgpr30
                                        ; implicit-def: $vgpr42
; %bb.25:
	s_or_saveexec_b64 s[2:3], s[2:3]
	v_sub_f32_e32 v26, v13, v28
	s_xor_b64 exec, exec, s[2:3]
	s_cbranch_execz .LBB0_27
; %bb.26:
	v_mul_lo_u16_e32 v7, 0x42, v30
	v_lshlrev_b32_e32 v7, 2, v7
	v_add3_u32 v7, 0, v42, v7
	ds_write2_b32 v7, v17, v16 offset1:22
	ds_write_b32 v7, v26 offset:176
.LBB0_27:
	s_or_b64 exec, exec, s[2:3]
	v_add_u32_e32 v7, 0xa00, v54
	s_waitcnt lgkmcnt(0)
	s_barrier
	ds_read2_b32 v[12:13], v7 offset0:20 offset1:218
	v_add_u32_e32 v7, 0x1400, v54
	ds_read2_b32 v[14:15], v54 offset1:198
	ds_read2_b32 v[24:25], v7 offset0:40 offset1:238
	ds_read_b32 v27, v54 offset:4224
	ds_read_b32 v7, v55
	ds_read_b32 v28, v54 offset:6864
	s_and_saveexec_b64 s[2:3], vcc
	s_cbranch_execz .LBB0_29
; %bb.28:
	ds_read_b32 v16, v54 offset:5016
	ds_read_b32 v17, v56
	ds_read_b32 v26, v54 offset:7656
.LBB0_29:
	s_or_b64 exec, exec, s[2:3]
	s_movk_i32 s2, 0xf9
	v_mul_lo_u16_sdwa v29, v2, s2 dst_sel:DWORD dst_unused:UNUSED_PAD src0_sel:BYTE_0 src1_sel:DWORD
	s_mov_b32 s2, 0xf83f
	v_lshrrev_b16_e32 v29, 14, v29
	v_mul_u32_u24_sdwa v34, v5, s2 dst_sel:DWORD dst_unused:UNUSED_PAD src0_sel:WORD_0 src1_sel:DWORD
	v_mul_lo_u16_e32 v30, 0x42, v29
	v_lshrrev_b32_e32 v34, 22, v34
	v_sub_u16_e32 v30, v2, v30
	v_mov_b32_e32 v33, 4
	v_mul_lo_u16_e32 v35, 0x42, v34
	v_lshlrev_b32_sdwa v33, v33, v30 dst_sel:DWORD dst_unused:UNUSED_PAD src0_sel:DWORD src1_sel:BYTE_0
	v_sub_u16_e32 v5, v5, v35
	v_lshlrev_b32_e32 v35, 4, v5
	global_load_dwordx4 v[40:43], v33, s[4:5] offset:440
	global_load_dwordx4 v[44:47], v35, s[4:5] offset:440
	v_mul_u32_u24_sdwa v33, v8, s2 dst_sel:DWORD dst_unused:UNUSED_PAD src0_sel:WORD_0 src1_sel:DWORD
	v_lshrrev_b32_e32 v52, 22, v33
	v_mul_lo_u16_e32 v33, 0x42, v52
	v_sub_u16_e32 v53, v8, v33
	v_mul_u32_u24_sdwa v35, v4, s2 dst_sel:DWORD dst_unused:UNUSED_PAD src0_sel:WORD_0 src1_sel:DWORD
	v_lshlrev_b32_e32 v33, 4, v53
	v_lshrrev_b32_e32 v35, 22, v35
	global_load_dwordx4 v[48:51], v33, s[4:5] offset:440
	v_mul_lo_u16_e32 v33, 0x42, v35
	v_sub_u16_e32 v57, v4, v33
	v_lshlrev_b32_e32 v33, 4, v57
	global_load_dwordx4 v[58:61], v33, s[4:5] offset:440
	v_mov_b32_e32 v33, 2
	v_mul_u32_u24_e32 v29, 0x318, v29
	v_mul_u32_u24_e32 v34, 0x318, v34
	v_lshlrev_b32_sdwa v30, v33, v30 dst_sel:DWORD dst_unused:UNUSED_PAD src0_sel:DWORD src1_sel:BYTE_0
	v_lshlrev_b32_e32 v5, 2, v5
	v_add3_u32 v33, 0, v29, v30
	v_add3_u32 v29, 0, v34, v5
	s_waitcnt lgkmcnt(0)
	s_barrier
	s_waitcnt vmcnt(3)
	v_mul_f32_e32 v38, v12, v41
	v_mul_f32_e32 v39, v24, v43
	;; [unrolled: 1-line block ×4, first 2 shown]
	s_waitcnt vmcnt(2)
	v_mul_f32_e32 v36, v13, v45
	v_mul_f32_e32 v37, v25, v47
	v_fmac_f32_e32 v38, v20, v40
	v_fmac_f32_e32 v39, v22, v42
	v_mul_f32_e32 v45, v21, v45
	v_mul_f32_e32 v47, v23, v47
	s_waitcnt vmcnt(1)
	v_mul_f32_e32 v34, v27, v49
	v_mul_f32_e32 v35, v28, v51
	v_fma_f32 v40, v12, v40, -v41
	s_waitcnt vmcnt(0)
	v_mul_f32_e32 v5, v16, v59
	v_mul_f32_e32 v59, v3, v59
	;; [unrolled: 1-line block ×4, first 2 shown]
	v_fma_f32 v22, v24, v42, -v43
	v_fmac_f32_e32 v36, v21, v44
	v_fmac_f32_e32 v37, v23, v46
	v_add_f32_e32 v23, v38, v39
	v_mul_f32_e32 v49, v31, v49
	v_mul_f32_e32 v51, v32, v51
	v_fma_f32 v20, v13, v44, -v45
	v_fma_f32 v21, v25, v46, -v47
	v_fmac_f32_e32 v34, v31, v48
	v_fmac_f32_e32 v35, v32, v50
	;; [unrolled: 1-line block ×3, first 2 shown]
	v_fma_f32 v3, v16, v58, -v59
	v_fmac_f32_e32 v30, v10, v60
	v_fma_f32 v10, v26, v60, -v61
	v_add_f32_e32 v16, v18, v38
	v_sub_f32_e32 v24, v40, v22
	v_add_f32_e32 v25, v19, v36
	v_add_f32_e32 v26, v36, v37
	v_fma_f32 v18, -0.5, v23, v18
	v_fma_f32 v12, v27, v48, -v49
	v_fma_f32 v13, v28, v50, -v51
	v_sub_f32_e32 v27, v20, v21
	v_add_f32_e32 v31, v34, v35
	v_add_f32_e32 v16, v16, v39
	;; [unrolled: 1-line block ×3, first 2 shown]
	v_fmac_f32_e32 v19, -0.5, v26
	v_fmamk_f32 v25, v24, 0xbf5db3d7, v18
	v_fmac_f32_e32 v18, 0x3f5db3d7, v24
	v_add_f32_e32 v28, v9, v34
	v_sub_f32_e32 v32, v12, v13
	v_fmac_f32_e32 v9, -0.5, v31
	v_fmamk_f32 v24, v27, 0xbf5db3d7, v19
	v_fmac_f32_e32 v19, 0x3f5db3d7, v27
	ds_write2_b32 v33, v16, v25 offset1:66
	ds_write_b32 v33, v18 offset:528
	ds_write2_b32 v29, v23, v24 offset1:66
	ds_write_b32 v29, v19 offset:528
	v_mul_u32_u24_e32 v16, 0x318, v52
	v_lshlrev_b32_e32 v18, 2, v53
	v_add_f32_e32 v26, v28, v35
	v_fmamk_f32 v27, v32, 0xbf5db3d7, v9
	v_add3_u32 v25, 0, v16, v18
	v_lshl_add_u32 v24, v57, 2, 0
	v_fmac_f32_e32 v9, 0x3f5db3d7, v32
	ds_write2_b32 v25, v26, v27 offset1:66
	ds_write_b32 v25, v9 offset:528
	s_and_saveexec_b64 s[2:3], vcc
	s_cbranch_execz .LBB0_31
; %bb.30:
	v_add_f32_e32 v9, v5, v30
	v_fma_f32 v9, -0.5, v9, v11
	v_sub_f32_e32 v16, v3, v10
	v_add_f32_e32 v11, v11, v5
	v_fmamk_f32 v18, v16, 0x3f5db3d7, v9
	v_fmac_f32_e32 v9, 0xbf5db3d7, v16
	v_add_f32_e32 v11, v11, v30
	v_add_u32_e32 v16, 0x1a00, v24
	ds_write2_b32 v16, v11, v9 offset0:118 offset1:184
	ds_write_b32 v24, v18 offset:7656
.LBB0_31:
	s_or_b64 exec, exec, s[2:3]
	v_add_f32_e32 v9, v14, v40
	v_add_f32_e32 v11, v9, v22
	;; [unrolled: 1-line block ×3, first 2 shown]
	v_fma_f32 v14, -0.5, v9, v14
	v_sub_f32_e32 v9, v38, v39
	v_fmamk_f32 v31, v9, 0x3f5db3d7, v14
	v_fmac_f32_e32 v14, 0xbf5db3d7, v9
	v_add_f32_e32 v9, v15, v20
	v_add_f32_e32 v32, v9, v21
	;; [unrolled: 1-line block ×3, first 2 shown]
	v_fmac_f32_e32 v15, -0.5, v9
	v_sub_f32_e32 v9, v36, v37
	v_fmamk_f32 v36, v9, 0x3f5db3d7, v15
	v_fmac_f32_e32 v15, 0xbf5db3d7, v9
	v_add_f32_e32 v9, v7, v12
	v_add_f32_e32 v37, v9, v13
	;; [unrolled: 1-line block ×3, first 2 shown]
	v_fmac_f32_e32 v7, -0.5, v9
	v_sub_f32_e32 v9, v34, v35
	v_add_u32_e32 v26, 0x900, v54
	v_add_u32_e32 v27, 0xf00, v54
	;; [unrolled: 1-line block ×3, first 2 shown]
	v_fmamk_f32 v34, v9, 0x3f5db3d7, v7
	v_fmac_f32_e32 v7, 0xbf5db3d7, v9
	s_waitcnt lgkmcnt(0)
	s_barrier
	ds_read2_b32 v[12:13], v54 offset1:198
	ds_read2_b32 v[18:19], v26 offset0:18 offset1:216
	ds_read2_b32 v[20:21], v27 offset0:30 offset1:228
	;; [unrolled: 1-line block ×3, first 2 shown]
	ds_read_b32 v16, v55
	ds_read_b32 v9, v54 offset:7128
	s_waitcnt lgkmcnt(0)
	s_barrier
	ds_write2_b32 v33, v11, v31 offset1:66
	ds_write_b32 v33, v14 offset:528
	ds_write2_b32 v29, v32, v36 offset1:66
	ds_write_b32 v29, v15 offset:528
	;; [unrolled: 2-line block ×3, first 2 shown]
	s_and_saveexec_b64 s[2:3], vcc
	s_cbranch_execz .LBB0_33
; %bb.32:
	v_add_f32_e32 v7, v17, v3
	v_add_f32_e32 v3, v3, v10
	v_fmac_f32_e32 v17, -0.5, v3
	v_sub_f32_e32 v3, v5, v30
	v_add_f32_e32 v7, v7, v10
	v_fmamk_f32 v5, v3, 0x3f5db3d7, v17
	v_add_u32_e32 v10, 0x1a00, v24
	v_fmamk_f32 v3, v3, 0xbf5db3d7, v17
	ds_write2_b32 v10, v7, v5 offset0:118 offset1:184
	ds_write_b32 v24, v3 offset:7656
.LBB0_33:
	s_or_b64 exec, exec, s[2:3]
	v_lshlrev_b32_e32 v10, 2, v2
	v_mov_b32_e32 v11, 0
	v_lshl_add_u64 v[14:15], v[10:11], 3, s[4:5]
	s_waitcnt lgkmcnt(0)
	s_barrier
	global_load_dwordx4 v[30:33], v[14:15], off offset:1496
	global_load_dwordx4 v[34:37], v[14:15], off offset:1512
	ds_read2_b32 v[14:15], v54 offset1:198
	ds_read_b32 v3, v55
	ds_read2_b32 v[24:25], v26 offset0:18 offset1:216
	ds_read2_b32 v[26:27], v27 offset0:30 offset1:228
	;; [unrolled: 1-line block ×3, first 2 shown]
	ds_read_b32 v5, v54 offset:7128
	s_waitcnt lgkmcnt(0)
	s_barrier
	s_waitcnt vmcnt(1)
	v_mul_f32_e32 v7, v3, v31
	v_mul_f32_e32 v17, v25, v33
	s_waitcnt vmcnt(0)
	v_mul_f32_e32 v39, v27, v35
	v_mul_f32_e32 v10, v16, v31
	;; [unrolled: 1-line block ×6, first 2 shown]
	v_fmac_f32_e32 v7, v16, v30
	v_fmac_f32_e32 v17, v19, v32
	;; [unrolled: 1-line block ×3, first 2 shown]
	v_mul_f32_e32 v38, v19, v33
	v_mul_f32_e32 v40, v21, v35
	;; [unrolled: 1-line block ×6, first 2 shown]
	v_fma_f32 v3, v3, v30, -v10
	v_fmac_f32_e32 v41, v23, v36
	v_fma_f32 v19, v29, v36, -v42
	v_fmac_f32_e32 v45, v22, v34
	v_fmac_f32_e32 v46, v9, v36
	v_add_f32_e32 v9, v12, v7
	v_add_f32_e32 v22, v17, v39
	v_mul_f32_e32 v43, v24, v31
	v_mul_f32_e32 v31, v18, v31
	v_fma_f32 v10, v25, v32, -v38
	v_fma_f32 v16, v27, v34, -v40
	v_fmac_f32_e32 v44, v20, v32
	v_fma_f32 v20, v26, v32, -v33
	v_fma_f32 v21, v28, v34, -v35
	v_sub_f32_e32 v23, v3, v19
	v_sub_f32_e32 v25, v7, v17
	;; [unrolled: 1-line block ×3, first 2 shown]
	v_add_f32_e32 v27, v7, v41
	v_sub_f32_e32 v28, v17, v7
	v_sub_f32_e32 v29, v39, v41
	;; [unrolled: 1-line block ×3, first 2 shown]
	v_add_f32_e32 v9, v9, v17
	v_fma_f32 v17, -0.5, v22, v12
	v_fmac_f32_e32 v43, v18, v30
	v_fma_f32 v18, v24, v30, -v31
	v_sub_f32_e32 v24, v10, v16
	v_add_f32_e32 v30, v14, v3
	v_add_f32_e32 v22, v25, v26
	v_fma_f32 v12, -0.5, v27, v12
	v_add_f32_e32 v25, v28, v29
	v_fmamk_f32 v29, v23, 0xbf737871, v17
	v_fmac_f32_e32 v17, 0x3f737871, v23
	v_add_f32_e32 v26, v30, v10
	v_fmamk_f32 v30, v24, 0x3f737871, v12
	v_fmac_f32_e32 v12, 0xbf737871, v24
	v_fmac_f32_e32 v29, 0xbf167918, v24
	;; [unrolled: 1-line block ×7, first 2 shown]
	v_add_f32_e32 v22, v3, v19
	v_add_f32_e32 v31, v10, v16
	;; [unrolled: 1-line block ×3, first 2 shown]
	v_fmac_f32_e32 v30, 0x3e9e377a, v25
	v_fmac_f32_e32 v12, 0x3e9e377a, v25
	v_fma_f32 v25, -0.5, v22, v14
	v_sub_f32_e32 v7, v7, v41
	v_fma_f32 v27, -0.5, v31, v14
	v_add_f32_e32 v24, v26, v19
	v_fmamk_f32 v26, v32, 0xbf737871, v25
	v_fmac_f32_e32 v25, 0x3f737871, v32
	v_fma_f32 v5, v5, v36, -v37
	v_fmamk_f32 v31, v7, 0x3f737871, v27
	v_fmac_f32_e32 v27, 0xbf737871, v7
	v_fmac_f32_e32 v26, 0x3f167918, v7
	;; [unrolled: 1-line block ×3, first 2 shown]
	v_add_f32_e32 v7, v44, v45
	v_sub_f32_e32 v33, v3, v10
	v_sub_f32_e32 v3, v10, v3
	;; [unrolled: 1-line block ×3, first 2 shown]
	v_fma_f32 v14, -0.5, v7, v13
	v_sub_f32_e32 v7, v18, v5
	v_sub_f32_e32 v34, v19, v16
	v_add_f32_e32 v3, v3, v10
	v_fmamk_f32 v16, v7, 0xbf737871, v14
	v_sub_f32_e32 v10, v20, v21
	v_sub_f32_e32 v19, v43, v44
	;; [unrolled: 1-line block ×3, first 2 shown]
	v_fmac_f32_e32 v14, 0x3f737871, v7
	v_fmac_f32_e32 v16, 0xbf167918, v10
	v_add_f32_e32 v19, v19, v22
	v_fmac_f32_e32 v14, 0x3f167918, v10
	v_fmac_f32_e32 v16, 0x3e9e377a, v19
	;; [unrolled: 1-line block ×3, first 2 shown]
	v_add_f32_e32 v19, v43, v46
	v_fmac_f32_e32 v26, 0x3e9e377a, v3
	v_fmac_f32_e32 v25, 0x3e9e377a, v3
	v_add_f32_e32 v3, v13, v43
	v_fmac_f32_e32 v13, -0.5, v19
	v_fmamk_f32 v19, v10, 0x3f737871, v13
	v_fmac_f32_e32 v13, 0xbf737871, v10
	v_fmac_f32_e32 v19, 0xbf167918, v7
	;; [unrolled: 1-line block ×3, first 2 shown]
	v_add_f32_e32 v7, v15, v18
	v_add_f32_e32 v7, v7, v20
	;; [unrolled: 1-line block ×3, first 2 shown]
	v_fmac_f32_e32 v31, 0x3f167918, v32
	v_fmac_f32_e32 v27, 0xbf167918, v32
	v_add_f32_e32 v7, v7, v21
	v_fmac_f32_e32 v31, 0x3e9e377a, v28
	v_fmac_f32_e32 v27, 0x3e9e377a, v28
	v_sub_f32_e32 v22, v44, v43
	v_sub_f32_e32 v23, v45, v46
	v_add_f32_e32 v28, v7, v5
	v_add_f32_e32 v7, v20, v21
	;; [unrolled: 1-line block ×3, first 2 shown]
	v_fma_f32 v32, -0.5, v7, v15
	v_sub_f32_e32 v7, v43, v46
	v_fmac_f32_e32 v19, 0x3e9e377a, v22
	v_fmac_f32_e32 v13, 0x3e9e377a, v22
	v_fmamk_f32 v33, v7, 0x3f737871, v32
	v_sub_f32_e32 v10, v44, v45
	v_sub_f32_e32 v22, v18, v20
	;; [unrolled: 1-line block ×3, first 2 shown]
	v_fmac_f32_e32 v32, 0xbf737871, v7
	v_fmac_f32_e32 v33, 0x3f167918, v10
	v_add_f32_e32 v22, v22, v23
	v_fmac_f32_e32 v32, 0xbf167918, v10
	v_fmac_f32_e32 v33, 0x3e9e377a, v22
	;; [unrolled: 1-line block ×3, first 2 shown]
	v_add_f32_e32 v22, v18, v5
	v_fmac_f32_e32 v15, -0.5, v22
	v_add_f32_e32 v3, v3, v44
	v_fmamk_f32 v34, v10, 0xbf737871, v15
	v_sub_f32_e32 v18, v20, v18
	v_sub_f32_e32 v5, v21, v5
	v_fmac_f32_e32 v15, 0x3f737871, v10
	v_add_f32_e32 v9, v9, v39
	v_add_f32_e32 v3, v3, v45
	v_fmac_f32_e32 v34, 0x3f167918, v7
	v_add_f32_e32 v5, v18, v5
	v_fmac_f32_e32 v15, 0xbf167918, v7
	v_add_u32_e32 v10, 0x1200, v54
	v_add_f32_e32 v9, v9, v41
	v_add_f32_e32 v3, v3, v46
	v_fmac_f32_e32 v34, 0x3e9e377a, v5
	v_fmac_f32_e32 v15, 0x3e9e377a, v5
	v_add_u32_e32 v5, 0x600, v54
	v_add_u32_e32 v7, 0xc00, v54
	ds_write2_b32 v10, v16, v19 offset0:36 offset1:234
	v_add_u32_e32 v19, 0x1800, v54
	ds_write2_b32 v54, v9, v29 offset1:198
	ds_write2_b32 v5, v30, v12 offset0:12 offset1:210
	ds_write2_b32 v7, v17, v3 offset0:24 offset1:222
	;; [unrolled: 1-line block ×3, first 2 shown]
	s_waitcnt lgkmcnt(0)
	s_barrier
	ds_read2_b32 v[22:23], v54 offset1:198
	ds_read2_b32 v[12:13], v7 offset0:24 offset1:222
	ds_read2_b32 v[20:21], v10 offset0:36 offset1:234
	ds_read_b32 v18, v55
	ds_read_b32 v14, v56
	ds_read2_b32 v[16:17], v19 offset0:48 offset1:246
	s_waitcnt lgkmcnt(0)
	s_barrier
	ds_write2_b32 v54, v24, v31 offset1:198
	ds_write2_b32 v5, v26, v25 offset0:12 offset1:210
	ds_write2_b32 v7, v27, v28 offset0:24 offset1:222
	;; [unrolled: 1-line block ×4, first 2 shown]
	s_waitcnt lgkmcnt(0)
	s_barrier
	s_and_saveexec_b64 s[2:3], s[0:1]
	s_cbranch_execz .LBB0_35
; %bb.34:
	v_mov_b32_e32 v3, v11
	v_lshlrev_b64 v[24:25], 3, v[2:3]
	v_lshl_add_u64 v[26:27], s[4:5], 0, v[24:25]
	s_movk_i32 s0, 0x1000
	v_add_co_u32_e32 v28, vcc, s0, v26
	s_movk_i32 s1, 0x2000
	s_nop 0
	v_addc_co_u32_e32 v29, vcc, 0, v27, vcc
	v_mov_b32_e32 v9, v11
	v_add_co_u32_e32 v26, vcc, s1, v26
	v_lshl_add_u64 v[8:9], v[8:9], 3, s[4:5]
	s_nop 0
	v_addc_co_u32_e32 v27, vcc, 0, v27, vcc
	v_add_co_u32_e32 v8, vcc, s0, v8
	v_mov_b32_e32 v5, v11
	s_nop 0
	v_addc_co_u32_e32 v9, vcc, 0, v9, vcc
	global_load_dwordx2 v[30:31], v[28:29], off offset:3736
	global_load_dwordx2 v[32:33], v[26:27], off offset:1224
	;; [unrolled: 1-line block ×3, first 2 shown]
	v_lshl_add_u64 v[4:5], v[4:5], 3, s[4:5]
	v_add_co_u32_e32 v4, vcc, s0, v4
	v_add_u32_e32 v3, 0x18c, v2
	s_nop 0
	v_addc_co_u32_e32 v5, vcc, 0, v5, vcc
	global_load_dwordx2 v[4:5], v[4:5], off offset:3736
	ds_read2_b32 v[8:9], v7 offset0:24 offset1:222
	ds_read2_b32 v[26:27], v19 offset0:48 offset1:246
	v_mov_b32_e32 v7, v11
	v_lshl_add_u64 v[28:29], v[6:7], 3, s[4:5]
	v_add_co_u32_e32 v28, vcc, s0, v28
	s_mov_b32 s2, 0x21195767
	s_nop 0
	v_addc_co_u32_e32 v29, vcc, 0, v29, vcc
	global_load_dwordx2 v[28:29], v[28:29], off offset:3736
	ds_read_b32 v15, v56
	ds_read_b32 v19, v55
	ds_read2_b32 v[36:37], v10 offset0:36 offset1:234
	ds_read2_b32 v[38:39], v54 offset1:198
	v_mul_hi_u32 v3, v3, s2
	v_lshrrev_b32_e32 v3, 7, v3
	v_lshl_add_u64 v[24:25], v[0:1], 0, v[24:25]
	v_mul_u32_u24_e32 v10, 0x3de, v3
	v_lshl_add_u64 v[52:53], v[10:11], 3, v[24:25]
	s_waitcnt lgkmcnt(5)
	v_mov_b32_e32 v10, v9
	s_waitcnt lgkmcnt(1)
	v_mov_b32_e32 v54, v37
	v_mov_b32_e32 v40, v22
	;; [unrolled: 1-line block ×6, first 2 shown]
	v_add_co_u32_e32 v48, vcc, s0, v24
	s_waitcnt lgkmcnt(0)
	v_mov_b32_e32 v41, v38
	v_mov_b32_e32 v38, v23
	v_addc_co_u32_e32 v49, vcc, 0, v25, vcc
	v_add_co_u32_e32 v50, vcc, s1, v24
	v_add_u32_e32 v2, 0x252, v2
	s_nop 0
	v_addc_co_u32_e32 v51, vcc, 0, v25, vcc
	v_mul_hi_u32 v3, v2, s2
	s_movk_i32 s3, 0x3de
	v_lshrrev_b32_e32 v3, 7, v3
	v_mov_b32_e32 v13, v8
	s_waitcnt vmcnt(4)
	v_pk_mul_f32 v[56:57], v[10:11], v[30:31] op_sel_hi:[0,1]
	s_waitcnt vmcnt(3)
	v_pk_mul_f32 v[36:37], v[36:37], v[32:33] op_sel_hi:[0,1]
	;; [unrolled: 2-line block ×3, first 2 shown]
	v_pk_fma_f32 v[22:23], v[22:23], v[30:31], v[56:57] op_sel:[0,0,1] op_sel_hi:[1,1,0]
	v_pk_fma_f32 v[30:31], v[42:43], v[30:31], v[56:57] op_sel:[0,0,1] op_sel_hi:[0,1,0] neg_lo:[1,0,0] neg_hi:[1,0,0]
	v_pk_fma_f32 v[42:43], v[20:21], v[32:33], v[36:37] op_sel:[0,0,1] op_sel_hi:[1,1,0]
	v_pk_fma_f32 v[20:21], v[20:21], v[32:33], v[36:37] op_sel:[0,0,1] op_sel_hi:[0,1,0] neg_lo:[1,0,0] neg_hi:[1,0,0]
	;; [unrolled: 2-line block ×3, first 2 shown]
	v_mov_b32_e32 v23, v31
	v_mov_b32_e32 v33, v35
	;; [unrolled: 1-line block ×3, first 2 shown]
	v_pk_add_f32 v[20:21], v[40:41], v[22:23] neg_lo:[0,1] neg_hi:[0,1]
	v_pk_add_f32 v[30:31], v[18:19], v[32:33] neg_lo:[0,1] neg_hi:[0,1]
	;; [unrolled: 1-line block ×3, first 2 shown]
	v_pk_fma_f32 v[32:33], v[40:41], 2.0, v[20:21] op_sel_hi:[1,0,1] neg_lo:[0,0,1] neg_hi:[0,0,1]
	v_pk_fma_f32 v[18:19], v[18:19], 2.0, v[30:31] op_sel_hi:[1,0,1] neg_lo:[0,0,1] neg_hi:[0,0,1]
	global_store_dwordx2 v[48:49], v[20:21], off offset:3824
	v_pk_fma_f32 v[20:21], v[38:39], 2.0, v[22:23] op_sel_hi:[1,0,1] neg_lo:[0,0,1] neg_hi:[0,0,1]
	global_store_dwordx2 v[50:51], v[22:23], off offset:1312
	global_store_dwordx2 v[24:25], v[32:33], off
	global_store_dwordx2 v[24:25], v[20:21], off offset:1584
	global_store_dwordx2 v[52:53], v[18:19], off offset:3168
	v_add_co_u32_e32 v18, vcc, s1, v52
	v_mad_u32_u24 v10, v3, s3, v2
	s_nop 0
	v_addc_co_u32_e32 v19, vcc, 0, v53, vcc
	global_store_dwordx2 v[18:19], v[30:31], off offset:2896
	s_waitcnt vmcnt(7)
	v_pk_mul_f32 v[18:19], v[26:27], v[4:5] op_sel_hi:[0,1]
	v_pk_fma_f32 v[20:21], v[16:17], v[4:5], v[18:19] op_sel:[0,0,1] op_sel_hi:[1,1,0]
	v_pk_fma_f32 v[4:5], v[16:17], v[4:5], v[18:19] op_sel:[0,0,1] op_sel_hi:[0,1,0] neg_lo:[1,0,0] neg_hi:[1,0,0]
	v_mov_b32_e32 v21, v5
	v_pk_add_f32 v[4:5], v[14:15], v[20:21] neg_lo:[0,1] neg_hi:[0,1]
	v_lshl_add_u64 v[2:3], v[10:11], 3, v[0:1]
	v_pk_fma_f32 v[14:15], v[14:15], 2.0, v[4:5] op_sel_hi:[1,0,1] neg_lo:[0,0,1] neg_hi:[0,0,1]
	global_store_dwordx2 v[2:3], v[14:15], off
	v_add_co_u32_e32 v2, vcc, s0, v2
	s_nop 1
	v_addc_co_u32_e32 v3, vcc, 0, v3, vcc
	global_store_dwordx2 v[2:3], v[4:5], off offset:3824
	v_mul_hi_u32 v2, v6, s2
	v_lshrrev_b32_e32 v2, 7, v2
	v_mad_u32_u24 v10, v2, s3, v6
	v_mov_b32_e32 v2, v27
	s_waitcnt vmcnt(8)
	v_pk_mul_f32 v[2:3], v[2:3], v[28:29] op_sel_hi:[0,1]
	v_mov_b32_e32 v4, v17
	v_mov_b32_e32 v6, v17
	v_pk_fma_f32 v[4:5], v[4:5], v[28:29], v[2:3] op_sel:[0,0,1] op_sel_hi:[1,1,0]
	v_pk_fma_f32 v[2:3], v[6:7], v[28:29], v[2:3] op_sel:[0,0,1] op_sel_hi:[0,1,0] neg_lo:[1,0,0] neg_hi:[1,0,0]
	v_mov_b32_e32 v5, v3
	v_pk_add_f32 v[2:3], v[12:13], v[4:5] neg_lo:[0,1] neg_hi:[0,1]
	v_lshl_add_u64 v[0:1], v[10:11], 3, v[0:1]
	v_pk_fma_f32 v[4:5], v[12:13], 2.0, v[2:3] op_sel_hi:[1,0,1] neg_lo:[0,0,1] neg_hi:[0,0,1]
	global_store_dwordx2 v[0:1], v[4:5], off
	v_add_co_u32_e32 v0, vcc, 0x1000, v0
	s_nop 1
	v_addc_co_u32_e32 v1, vcc, 0, v1, vcc
	global_store_dwordx2 v[0:1], v[2:3], off offset:3824
.LBB0_35:
	s_endpgm
	.section	.rodata,"a",@progbits
	.p2align	6, 0x0
	.amdhsa_kernel fft_rtc_back_len1980_factors_11_2_3_3_5_2_wgs_198_tpt_198_halfLds_sp_ip_CI_unitstride_sbrr_dirReg
		.amdhsa_group_segment_fixed_size 0
		.amdhsa_private_segment_fixed_size 0
		.amdhsa_kernarg_size 88
		.amdhsa_user_sgpr_count 2
		.amdhsa_user_sgpr_dispatch_ptr 0
		.amdhsa_user_sgpr_queue_ptr 0
		.amdhsa_user_sgpr_kernarg_segment_ptr 1
		.amdhsa_user_sgpr_dispatch_id 0
		.amdhsa_user_sgpr_kernarg_preload_length 0
		.amdhsa_user_sgpr_kernarg_preload_offset 0
		.amdhsa_user_sgpr_private_segment_size 0
		.amdhsa_uses_dynamic_stack 0
		.amdhsa_enable_private_segment 0
		.amdhsa_system_sgpr_workgroup_id_x 1
		.amdhsa_system_sgpr_workgroup_id_y 0
		.amdhsa_system_sgpr_workgroup_id_z 0
		.amdhsa_system_sgpr_workgroup_info 0
		.amdhsa_system_vgpr_workitem_id 0
		.amdhsa_next_free_vgpr 72
		.amdhsa_next_free_sgpr 36
		.amdhsa_accum_offset 72
		.amdhsa_reserve_vcc 1
		.amdhsa_float_round_mode_32 0
		.amdhsa_float_round_mode_16_64 0
		.amdhsa_float_denorm_mode_32 3
		.amdhsa_float_denorm_mode_16_64 3
		.amdhsa_dx10_clamp 1
		.amdhsa_ieee_mode 1
		.amdhsa_fp16_overflow 0
		.amdhsa_tg_split 0
		.amdhsa_exception_fp_ieee_invalid_op 0
		.amdhsa_exception_fp_denorm_src 0
		.amdhsa_exception_fp_ieee_div_zero 0
		.amdhsa_exception_fp_ieee_overflow 0
		.amdhsa_exception_fp_ieee_underflow 0
		.amdhsa_exception_fp_ieee_inexact 0
		.amdhsa_exception_int_div_zero 0
	.end_amdhsa_kernel
	.text
.Lfunc_end0:
	.size	fft_rtc_back_len1980_factors_11_2_3_3_5_2_wgs_198_tpt_198_halfLds_sp_ip_CI_unitstride_sbrr_dirReg, .Lfunc_end0-fft_rtc_back_len1980_factors_11_2_3_3_5_2_wgs_198_tpt_198_halfLds_sp_ip_CI_unitstride_sbrr_dirReg
                                        ; -- End function
	.section	.AMDGPU.csdata,"",@progbits
; Kernel info:
; codeLenInByte = 8592
; NumSgprs: 42
; NumVgprs: 72
; NumAgprs: 0
; TotalNumVgprs: 72
; ScratchSize: 0
; MemoryBound: 0
; FloatMode: 240
; IeeeMode: 1
; LDSByteSize: 0 bytes/workgroup (compile time only)
; SGPRBlocks: 5
; VGPRBlocks: 8
; NumSGPRsForWavesPerEU: 42
; NumVGPRsForWavesPerEU: 72
; AccumOffset: 72
; Occupancy: 7
; WaveLimiterHint : 1
; COMPUTE_PGM_RSRC2:SCRATCH_EN: 0
; COMPUTE_PGM_RSRC2:USER_SGPR: 2
; COMPUTE_PGM_RSRC2:TRAP_HANDLER: 0
; COMPUTE_PGM_RSRC2:TGID_X_EN: 1
; COMPUTE_PGM_RSRC2:TGID_Y_EN: 0
; COMPUTE_PGM_RSRC2:TGID_Z_EN: 0
; COMPUTE_PGM_RSRC2:TIDIG_COMP_CNT: 0
; COMPUTE_PGM_RSRC3_GFX90A:ACCUM_OFFSET: 17
; COMPUTE_PGM_RSRC3_GFX90A:TG_SPLIT: 0
	.text
	.p2alignl 6, 3212836864
	.fill 256, 4, 3212836864
	.type	__hip_cuid_ca5a921a8a4b09d2,@object ; @__hip_cuid_ca5a921a8a4b09d2
	.section	.bss,"aw",@nobits
	.globl	__hip_cuid_ca5a921a8a4b09d2
__hip_cuid_ca5a921a8a4b09d2:
	.byte	0                               ; 0x0
	.size	__hip_cuid_ca5a921a8a4b09d2, 1

	.ident	"AMD clang version 19.0.0git (https://github.com/RadeonOpenCompute/llvm-project roc-6.4.0 25133 c7fe45cf4b819c5991fe208aaa96edf142730f1d)"
	.section	".note.GNU-stack","",@progbits
	.addrsig
	.addrsig_sym __hip_cuid_ca5a921a8a4b09d2
	.amdgpu_metadata
---
amdhsa.kernels:
  - .agpr_count:     0
    .args:
      - .actual_access:  read_only
        .address_space:  global
        .offset:         0
        .size:           8
        .value_kind:     global_buffer
      - .offset:         8
        .size:           8
        .value_kind:     by_value
      - .actual_access:  read_only
        .address_space:  global
        .offset:         16
        .size:           8
        .value_kind:     global_buffer
      - .actual_access:  read_only
        .address_space:  global
        .offset:         24
        .size:           8
        .value_kind:     global_buffer
      - .offset:         32
        .size:           8
        .value_kind:     by_value
      - .actual_access:  read_only
        .address_space:  global
        .offset:         40
        .size:           8
        .value_kind:     global_buffer
      - .actual_access:  read_only
        .address_space:  global
        .offset:         48
        .size:           8
        .value_kind:     global_buffer
      - .offset:         56
        .size:           4
        .value_kind:     by_value
      - .actual_access:  read_only
        .address_space:  global
        .offset:         64
        .size:           8
        .value_kind:     global_buffer
      - .actual_access:  read_only
        .address_space:  global
        .offset:         72
        .size:           8
        .value_kind:     global_buffer
      - .address_space:  global
        .offset:         80
        .size:           8
        .value_kind:     global_buffer
    .group_segment_fixed_size: 0
    .kernarg_segment_align: 8
    .kernarg_segment_size: 88
    .language:       OpenCL C
    .language_version:
      - 2
      - 0
    .max_flat_workgroup_size: 198
    .name:           fft_rtc_back_len1980_factors_11_2_3_3_5_2_wgs_198_tpt_198_halfLds_sp_ip_CI_unitstride_sbrr_dirReg
    .private_segment_fixed_size: 0
    .sgpr_count:     42
    .sgpr_spill_count: 0
    .symbol:         fft_rtc_back_len1980_factors_11_2_3_3_5_2_wgs_198_tpt_198_halfLds_sp_ip_CI_unitstride_sbrr_dirReg.kd
    .uniform_work_group_size: 1
    .uses_dynamic_stack: false
    .vgpr_count:     72
    .vgpr_spill_count: 0
    .wavefront_size: 64
amdhsa.target:   amdgcn-amd-amdhsa--gfx950
amdhsa.version:
  - 1
  - 2
...

	.end_amdgpu_metadata
